;; amdgpu-corpus repo=zjin-lcf/HeCBench kind=compiled arch=gfx1250 opt=O3
	.amdgcn_target "amdgcn-amd-amdhsa--gfx1250"
	.amdhsa_code_object_version 6
	.text
	.protected	_Z5relaxPKdPKiS2_PdS0_i ; -- Begin function _Z5relaxPKdPKiS2_PdS0_i
	.globl	_Z5relaxPKdPKiS2_PdS0_i
	.p2align	8
	.type	_Z5relaxPKdPKiS2_PdS0_i,@function
_Z5relaxPKdPKiS2_PdS0_i:                ; @_Z5relaxPKdPKiS2_PdS0_i
; %bb.0:
	s_clause 0x1
	s_load_b32 s2, s[0:1], 0x3c
	s_load_b32 s3, s[0:1], 0x28
	s_bfe_u32 s4, ttmp6, 0x4000c
	s_and_b32 s5, ttmp6, 15
	s_add_co_i32 s4, s4, 1
	s_getreg_b32 s6, hwreg(HW_REG_IB_STS2, 6, 4)
	s_mul_i32 s4, ttmp9, s4
	s_delay_alu instid0(SALU_CYCLE_1) | instskip(SKIP_4) | instid1(SALU_CYCLE_1)
	s_add_co_i32 s5, s5, s4
	s_wait_kmcnt 0x0
	s_and_b32 s2, s2, 0xffff
	s_cmp_eq_u32 s6, 0
	s_cselect_b32 s4, ttmp9, s5
	v_mad_u32 v0, s4, s2, v0
	s_mov_b32 s2, exec_lo
	s_delay_alu instid0(VALU_DEP_1)
	v_cmpx_gt_i32_e64 s3, v0
	s_cbranch_execz .LBB0_7
; %bb.1:
	s_load_b256 s[4:11], s[0:1], 0x0
	s_wait_kmcnt 0x0
	global_load_b32 v6, v0, s[6:7] scale_offset
	s_wait_loadcnt 0x0
	global_load_b64 v[2:3], v6, s[4:5] scale_offset
	s_wait_loadcnt 0x0
	v_cmp_neq_f64_e32 vcc_lo, 0, v[2:3]
	s_and_b32 exec_lo, exec_lo, vcc_lo
	s_cbranch_execz .LBB0_7
; %bb.2:
	s_load_b64 s[0:1], s[0:1], 0x20
	v_dual_ashrrev_i32 v1, 31, v0 :: v_dual_add_nc_u32 v6, 1, v6
	s_delay_alu instid0(VALU_DEP_1)
	v_lshl_add_u64 v[8:9], v[0:1], 2, s[6:7]
	s_wait_kmcnt 0x0
	v_lshl_add_u64 v[10:11], v[0:1], 3, s[0:1]
	s_mov_b32 s0, exec_lo
	global_load_b32 v12, v[8:9], off offset:4
	global_load_b64 v[4:5], v[10:11], off
	s_wait_loadcnt 0x1
	s_wait_xcnt 0x0
	v_cmpx_lt_i32_e64 v6, v12
	s_cbranch_execz .LBB0_6
; %bb.3:
	v_ashrrev_i32_e32 v7, 31, v6
	s_mov_b32 s1, 0
	s_delay_alu instid0(VALU_DEP_1)
	v_lshl_add_u64 v[8:9], v[6:7], 2, s[8:9]
	v_lshl_add_u64 v[10:11], v[6:7], 3, s[4:5]
.LBB0_4:                                ; =>This Inner Loop Header: Depth=1
	global_load_b32 v7, v[8:9], off
	global_load_b64 v[14:15], v[10:11], off
	s_wait_xcnt 0x1
	v_add_nc_u64_e32 v[8:9], 4, v[8:9]
	s_wait_xcnt 0x0
	v_add_nc_u64_e32 v[10:11], 8, v[10:11]
	v_add_nc_u32_e32 v6, 1, v6
	s_delay_alu instid0(VALU_DEP_1)
	v_cmp_ge_i32_e32 vcc_lo, v6, v12
	s_or_b32 s1, vcc_lo, s1
	s_wait_loadcnt 0x1
	global_load_b64 v[16:17], v7, s[10:11] scale_offset
	s_wait_loadcnt 0x0
	v_fma_f64 v[4:5], -v[14:15], v[16:17], v[4:5]
	s_and_not1_b32 exec_lo, exec_lo, s1
	s_cbranch_execnz .LBB0_4
; %bb.5:
	s_or_b32 exec_lo, exec_lo, s1
.LBB0_6:
	s_delay_alu instid0(SALU_CYCLE_1) | instskip(SKIP_1) | instid1(VALU_DEP_1)
	s_or_b32 exec_lo, exec_lo, s0
	s_wait_loadcnt 0x0
	v_div_scale_f64 v[6:7], null, v[2:3], v[2:3], v[4:5]
	v_lshl_add_u64 v[0:1], v[0:1], 3, s[10:11]
	s_delay_alu instid0(VALU_DEP_2) | instskip(SKIP_1) | instid1(TRANS32_DEP_1)
	v_rcp_f64_e32 v[8:9], v[6:7]
	v_nop
	v_fma_f64 v[10:11], -v[6:7], v[8:9], 1.0
	s_delay_alu instid0(VALU_DEP_1) | instskip(NEXT) | instid1(VALU_DEP_1)
	v_fmac_f64_e32 v[8:9], v[8:9], v[10:11]
	v_fma_f64 v[10:11], -v[6:7], v[8:9], 1.0
	s_delay_alu instid0(VALU_DEP_1) | instskip(SKIP_1) | instid1(VALU_DEP_1)
	v_fmac_f64_e32 v[8:9], v[8:9], v[10:11]
	v_div_scale_f64 v[10:11], vcc_lo, v[4:5], v[2:3], v[4:5]
	v_mul_f64_e32 v[12:13], v[10:11], v[8:9]
	s_delay_alu instid0(VALU_DEP_1) | instskip(NEXT) | instid1(VALU_DEP_1)
	v_fma_f64 v[6:7], -v[6:7], v[12:13], v[10:11]
	v_div_fmas_f64 v[6:7], v[6:7], v[8:9], v[12:13]
	s_delay_alu instid0(VALU_DEP_1)
	v_div_fixup_f64 v[2:3], v[6:7], v[2:3], v[4:5]
	global_store_b64 v[0:1], v[2:3], off
.LBB0_7:
	s_endpgm
	.section	.rodata,"a",@progbits
	.p2align	6, 0x0
	.amdhsa_kernel _Z5relaxPKdPKiS2_PdS0_i
		.amdhsa_group_segment_fixed_size 0
		.amdhsa_private_segment_fixed_size 0
		.amdhsa_kernarg_size 304
		.amdhsa_user_sgpr_count 2
		.amdhsa_user_sgpr_dispatch_ptr 0
		.amdhsa_user_sgpr_queue_ptr 0
		.amdhsa_user_sgpr_kernarg_segment_ptr 1
		.amdhsa_user_sgpr_dispatch_id 0
		.amdhsa_user_sgpr_kernarg_preload_length 0
		.amdhsa_user_sgpr_kernarg_preload_offset 0
		.amdhsa_user_sgpr_private_segment_size 0
		.amdhsa_wavefront_size32 1
		.amdhsa_uses_dynamic_stack 0
		.amdhsa_enable_private_segment 0
		.amdhsa_system_sgpr_workgroup_id_x 1
		.amdhsa_system_sgpr_workgroup_id_y 0
		.amdhsa_system_sgpr_workgroup_id_z 0
		.amdhsa_system_sgpr_workgroup_info 0
		.amdhsa_system_vgpr_workitem_id 0
		.amdhsa_next_free_vgpr 18
		.amdhsa_next_free_sgpr 12
		.amdhsa_named_barrier_count 0
		.amdhsa_reserve_vcc 1
		.amdhsa_float_round_mode_32 0
		.amdhsa_float_round_mode_16_64 0
		.amdhsa_float_denorm_mode_32 3
		.amdhsa_float_denorm_mode_16_64 3
		.amdhsa_fp16_overflow 0
		.amdhsa_memory_ordered 1
		.amdhsa_forward_progress 1
		.amdhsa_inst_pref_size 4
		.amdhsa_round_robin_scheduling 0
		.amdhsa_exception_fp_ieee_invalid_op 0
		.amdhsa_exception_fp_denorm_src 0
		.amdhsa_exception_fp_ieee_div_zero 0
		.amdhsa_exception_fp_ieee_overflow 0
		.amdhsa_exception_fp_ieee_underflow 0
		.amdhsa_exception_fp_ieee_inexact 0
		.amdhsa_exception_int_div_zero 0
	.end_amdhsa_kernel
	.text
.Lfunc_end0:
	.size	_Z5relaxPKdPKiS2_PdS0_i, .Lfunc_end0-_Z5relaxPKdPKiS2_PdS0_i
                                        ; -- End function
	.set _Z5relaxPKdPKiS2_PdS0_i.num_vgpr, 18
	.set _Z5relaxPKdPKiS2_PdS0_i.num_agpr, 0
	.set _Z5relaxPKdPKiS2_PdS0_i.numbered_sgpr, 12
	.set _Z5relaxPKdPKiS2_PdS0_i.num_named_barrier, 0
	.set _Z5relaxPKdPKiS2_PdS0_i.private_seg_size, 0
	.set _Z5relaxPKdPKiS2_PdS0_i.uses_vcc, 1
	.set _Z5relaxPKdPKiS2_PdS0_i.uses_flat_scratch, 0
	.set _Z5relaxPKdPKiS2_PdS0_i.has_dyn_sized_stack, 0
	.set _Z5relaxPKdPKiS2_PdS0_i.has_recursion, 0
	.set _Z5relaxPKdPKiS2_PdS0_i.has_indirect_call, 0
	.section	.AMDGPU.csdata,"",@progbits
; Kernel info:
; codeLenInByte = 504
; TotalNumSgprs: 14
; NumVgprs: 18
; ScratchSize: 0
; MemoryBound: 0
; FloatMode: 240
; IeeeMode: 1
; LDSByteSize: 0 bytes/workgroup (compile time only)
; SGPRBlocks: 0
; VGPRBlocks: 1
; NumSGPRsForWavesPerEU: 14
; NumVGPRsForWavesPerEU: 18
; NamedBarCnt: 0
; Occupancy: 16
; WaveLimiterHint : 1
; COMPUTE_PGM_RSRC2:SCRATCH_EN: 0
; COMPUTE_PGM_RSRC2:USER_SGPR: 2
; COMPUTE_PGM_RSRC2:TRAP_HANDLER: 0
; COMPUTE_PGM_RSRC2:TGID_X_EN: 1
; COMPUTE_PGM_RSRC2:TGID_Y_EN: 0
; COMPUTE_PGM_RSRC2:TGID_Z_EN: 0
; COMPUTE_PGM_RSRC2:TIDIG_COMP_CNT: 0
	.text
	.p2alignl 7, 3214868480
	.fill 96, 4, 3214868480
	.section	.AMDGPU.gpr_maximums,"",@progbits
	.set amdgpu.max_num_vgpr, 0
	.set amdgpu.max_num_agpr, 0
	.set amdgpu.max_num_sgpr, 0
	.text
	.type	__hip_cuid_f6ad70618c95c6c0,@object ; @__hip_cuid_f6ad70618c95c6c0
	.section	.bss,"aw",@nobits
	.globl	__hip_cuid_f6ad70618c95c6c0
__hip_cuid_f6ad70618c95c6c0:
	.byte	0                               ; 0x0
	.size	__hip_cuid_f6ad70618c95c6c0, 1

	.ident	"AMD clang version 22.0.0git (https://github.com/RadeonOpenCompute/llvm-project roc-7.2.4 26084 f58b06dce1f9c15707c5f808fd002e18c2accf7e)"
	.section	".note.GNU-stack","",@progbits
	.addrsig
	.addrsig_sym __hip_cuid_f6ad70618c95c6c0
	.amdgpu_metadata
---
amdhsa.kernels:
  - .args:
      - .address_space:  global
        .offset:         0
        .size:           8
        .value_kind:     global_buffer
      - .address_space:  global
        .offset:         8
        .size:           8
        .value_kind:     global_buffer
      - .address_space:  global
        .offset:         16
        .size:           8
        .value_kind:     global_buffer
      - .address_space:  global
        .offset:         24
        .size:           8
        .value_kind:     global_buffer
      - .address_space:  global
        .offset:         32
        .size:           8
        .value_kind:     global_buffer
      - .offset:         40
        .size:           4
        .value_kind:     by_value
      - .offset:         48
        .size:           4
        .value_kind:     hidden_block_count_x
      - .offset:         52
        .size:           4
        .value_kind:     hidden_block_count_y
      - .offset:         56
        .size:           4
        .value_kind:     hidden_block_count_z
      - .offset:         60
        .size:           2
        .value_kind:     hidden_group_size_x
      - .offset:         62
        .size:           2
        .value_kind:     hidden_group_size_y
      - .offset:         64
        .size:           2
        .value_kind:     hidden_group_size_z
      - .offset:         66
        .size:           2
        .value_kind:     hidden_remainder_x
      - .offset:         68
        .size:           2
        .value_kind:     hidden_remainder_y
      - .offset:         70
        .size:           2
        .value_kind:     hidden_remainder_z
      - .offset:         88
        .size:           8
        .value_kind:     hidden_global_offset_x
      - .offset:         96
        .size:           8
        .value_kind:     hidden_global_offset_y
      - .offset:         104
        .size:           8
        .value_kind:     hidden_global_offset_z
      - .offset:         112
        .size:           2
        .value_kind:     hidden_grid_dims
    .group_segment_fixed_size: 0
    .kernarg_segment_align: 8
    .kernarg_segment_size: 304
    .language:       OpenCL C
    .language_version:
      - 2
      - 0
    .max_flat_workgroup_size: 1024
    .name:           _Z5relaxPKdPKiS2_PdS0_i
    .private_segment_fixed_size: 0
    .sgpr_count:     14
    .sgpr_spill_count: 0
    .symbol:         _Z5relaxPKdPKiS2_PdS0_i.kd
    .uniform_work_group_size: 1
    .uses_dynamic_stack: false
    .vgpr_count:     18
    .vgpr_spill_count: 0
    .wavefront_size: 32
amdhsa.target:   amdgcn-amd-amdhsa--gfx1250
amdhsa.version:
  - 1
  - 2
...

	.end_amdgpu_metadata
